;; amdgpu-corpus repo=LLNL/RAJAPerf kind=compiled arch=gfx1100 opt=O3
	.text
	.amdgcn_target "amdgcn-amd-amdhsa--gfx1100"
	.amdhsa_code_object_version 6
	.section	.text._ZN8rajaperf4apps15Mass3DPA_AtomicILm64EEEvPdS2_S2_PlS2_,"axG",@progbits,_ZN8rajaperf4apps15Mass3DPA_AtomicILm64EEEvPdS2_S2_PlS2_,comdat
	.protected	_ZN8rajaperf4apps15Mass3DPA_AtomicILm64EEEvPdS2_S2_PlS2_ ; -- Begin function _ZN8rajaperf4apps15Mass3DPA_AtomicILm64EEEvPdS2_S2_PlS2_
	.globl	_ZN8rajaperf4apps15Mass3DPA_AtomicILm64EEEvPdS2_S2_PlS2_
	.p2align	8
	.type	_ZN8rajaperf4apps15Mass3DPA_AtomicILm64EEEvPdS2_S2_PlS2_,@function
_ZN8rajaperf4apps15Mass3DPA_AtomicILm64EEEvPdS2_S2_PlS2_: ; @_ZN8rajaperf4apps15Mass3DPA_AtomicILm64EEEvPdS2_S2_PlS2_
; %bb.0:
	s_clause 0x1
	s_load_b256 s[4:11], s[0:1], 0x0
	s_load_b64 s[12:13], s[0:1], 0x20
	v_bfe_u32 v6, v0, 20, 10
	v_bfe_u32 v7, v0, 10, 10
	s_mov_b32 s14, s15
	s_mov_b32 s15, 0
	s_delay_alu instid0(VALU_DEP_2)
	v_cmp_gt_u32_e32 vcc_lo, 3, v6
	s_and_saveexec_b32 s1, vcc_lo
	s_cbranch_execz .LBB0_4
; %bb.1:
	v_cmp_gt_u32_e64 s0, 3, v7
	s_delay_alu instid0(VALU_DEP_1)
	s_and_b32 exec_lo, exec_lo, s0
	s_cbranch_execz .LBB0_4
; %bb.2:
	v_and_b32_e32 v1, 0x3ff, v0
	s_delay_alu instid0(VALU_DEP_1) | instskip(NEXT) | instid1(VALU_DEP_1)
	v_cmp_gt_u32_e64 s0, 3, v1
	s_and_b32 exec_lo, exec_lo, s0
	s_cbranch_execz .LBB0_4
; %bb.3:
	v_mul_u32_u24_e32 v3, 3, v6
	v_mov_b32_e32 v2, 0
	v_mul_u32_u24_e32 v10, 0x48, v6
	s_delay_alu instid0(VALU_DEP_3) | instskip(NEXT) | instid1(VALU_DEP_1)
	v_add_nc_u32_e32 v5, v3, v7
	v_mad_u64_u32 v[3:4], null, v5, 3, v[1:2]
	v_lshlrev_b32_e32 v1, 3, v1
	v_mul_u32_u24_e32 v2, 24, v7
	s_delay_alu instid0(VALU_DEP_1) | instskip(NEXT) | instid1(VALU_DEP_4)
	v_add3_u32 v1, v10, v2, v1
	v_lshlrev_b64 v[4:5], 3, v[3:4]
	v_lshlrev_b32_e32 v3, 3, v3
	s_waitcnt lgkmcnt(0)
	s_delay_alu instid0(VALU_DEP_2) | instskip(NEXT) | instid1(VALU_DEP_1)
	v_add_co_u32 v4, s0, s10, v4
	v_add_co_ci_u32_e64 v5, s0, s11, v5, s0
	s_delay_alu instid0(VALU_DEP_1) | instskip(SKIP_3) | instid1(VALU_DEP_1)
	v_mad_u64_u32 v[8:9], null, 0xd8, s14, v[4:5]
	global_load_b64 v[4:5], v[8:9], off
	s_waitcnt vmcnt(0)
	v_lshlrev_b64 v[8:9], 3, v[4:5]
	v_add_co_u32 v8, s0, s8, v8
	s_delay_alu instid0(VALU_DEP_1)
	v_add_co_ci_u32_e64 v9, s0, s9, v9, s0
	global_load_b64 v[8:9], v[8:9], off
	ds_store_b64 v3, v[4:5] offset:1024
	s_waitcnt vmcnt(0)
	ds_store_b64 v1, v[8:9]
.LBB0_4:
	s_or_b32 exec_lo, exec_lo, s1
	v_and_b32_e32 v0, 0x3ff, v0
	v_cmp_gt_u32_e64 s0, 3, v7
	v_cmp_eq_u32_e64 s2, 0, v6
	s_delay_alu instid0(VALU_DEP_3) | instskip(NEXT) | instid1(VALU_DEP_1)
	v_cmp_gt_u32_e64 s1, 4, v0
	s_and_b32 s0, s0, s1
	s_delay_alu instid0(VALU_DEP_2) | instid1(SALU_CYCLE_1)
	s_and_b32 s1, s0, s2
	s_delay_alu instid0(SALU_CYCLE_1)
	s_and_saveexec_b32 s0, s1
	s_cbranch_execz .LBB0_6
; %bb.5:
	v_lshlrev_b32_e32 v3, 3, v0
	v_lshlrev_b32_e32 v4, 5, v7
	;; [unrolled: 1-line block ×3, first 2 shown]
	s_delay_alu instid0(VALU_DEP_2) | instskip(NEXT) | instid1(VALU_DEP_2)
	v_or_b32_e32 v1, v4, v3
	v_mad_u32_u24 v5, v0, 24, v5
	v_add_nc_u32_e32 v3, v4, v3
	s_waitcnt lgkmcnt(0)
	global_load_b64 v[1:2], v1, s[4:5]
	s_waitcnt vmcnt(0)
	ds_store_b64 v5, v[1:2] offset:1248
	ds_store_b64 v3, v[1:2] offset:1344
.LBB0_6:
	s_or_b32 exec_lo, exec_lo, s0
	s_waitcnt lgkmcnt(0)
	s_barrier
	buffer_gl0_inv
	s_and_saveexec_b32 s1, vcc_lo
	s_cbranch_execz .LBB0_10
; %bb.7:
	v_cmp_gt_u32_e64 s0, 3, v7
	s_delay_alu instid0(VALU_DEP_1)
	s_and_b32 exec_lo, exec_lo, s0
	s_cbranch_execz .LBB0_10
; %bb.8:
	v_cmp_gt_u32_e64 s0, 4, v0
	s_delay_alu instid0(VALU_DEP_1)
	s_and_b32 exec_lo, exec_lo, s0
	s_cbranch_execz .LBB0_10
; %bb.9:
	v_mul_u32_u24_e32 v1, 24, v7
	v_mul_u32_u24_e32 v5, 24, v0
	s_delay_alu instid0(VALU_DEP_2)
	v_mad_u32_u24 v12, 0x48, v6, v1
	ds_load_2addr_b64 v[1:4], v5 offset0:156 offset1:157
	ds_load_2addr_b64 v[8:11], v12 offset1:1
	ds_load_b64 v[12:13], v12 offset:16
	ds_load_b64 v[14:15], v5 offset:1264
	v_mul_u32_u24_e32 v5, 0x60, v6
	s_waitcnt lgkmcnt(2)
	v_fma_f64 v[1:2], v[8:9], v[1:2], 0
	s_delay_alu instid0(VALU_DEP_1) | instskip(SKIP_2) | instid1(VALU_DEP_1)
	v_fma_f64 v[1:2], v[10:11], v[3:4], v[1:2]
	v_lshlrev_b32_e32 v3, 3, v0
	v_lshlrev_b32_e32 v4, 5, v7
	v_add3_u32 v3, v5, v4, v3
	s_waitcnt lgkmcnt(0)
	s_delay_alu instid0(VALU_DEP_4)
	v_fma_f64 v[1:2], v[12:13], v[14:15], v[1:2]
	ds_store_b64 v3, v[1:2] offset:512
.LBB0_10:
	s_or_b32 exec_lo, exec_lo, s1
	s_waitcnt lgkmcnt(0)
	s_barrier
	buffer_gl0_inv
	s_and_saveexec_b32 s1, vcc_lo
	s_cbranch_execz .LBB0_14
; %bb.11:
	v_cmp_gt_u32_e64 s0, 4, v7
	s_delay_alu instid0(VALU_DEP_1)
	s_and_b32 exec_lo, exec_lo, s0
	s_cbranch_execz .LBB0_14
; %bb.12:
	v_cmp_gt_u32_e64 s0, 4, v0
	s_delay_alu instid0(VALU_DEP_1)
	s_and_b32 exec_lo, exec_lo, s0
	s_cbranch_execz .LBB0_14
; %bb.13:
	v_lshlrev_b32_e32 v5, 3, v0
	v_mul_u32_u24_e32 v14, 24, v7
	s_delay_alu instid0(VALU_DEP_2)
	v_mad_u32_u24 v12, 0x60, v6, v5
	ds_load_2addr_b64 v[1:4], v12 offset0:64 offset1:68
	ds_load_2addr_b64 v[8:11], v14 offset0:156 offset1:157
	ds_load_b64 v[12:13], v12 offset:576
	s_waitcnt lgkmcnt(1)
	v_fma_f64 v[1:2], v[1:2], v[8:9], 0
	s_delay_alu instid0(VALU_DEP_1)
	v_fma_f64 v[1:2], v[3:4], v[10:11], v[1:2]
	ds_load_b64 v[3:4], v14 offset:1264
	s_waitcnt lgkmcnt(0)
	v_fma_f64 v[1:2], v[12:13], v[3:4], v[1:2]
	v_lshlrev_b32_e32 v3, 5, v7
	v_lshlrev_b32_e32 v4, 7, v6
	s_delay_alu instid0(VALU_DEP_1)
	v_add3_u32 v3, v4, v3, v5
	ds_store_b64 v3, v[1:2]
.LBB0_14:
	s_or_b32 exec_lo, exec_lo, s1
	v_cmp_gt_u32_e64 s0, 4, v6
	s_waitcnt lgkmcnt(0)
	s_barrier
	buffer_gl0_inv
	s_and_saveexec_b32 s2, s0
	s_cbranch_execz .LBB0_18
; %bb.15:
	v_cmp_gt_u32_e64 s1, 4, v7
	s_delay_alu instid0(VALU_DEP_1)
	s_and_b32 exec_lo, exec_lo, s1
	s_cbranch_execz .LBB0_18
; %bb.16:
	v_cmp_gt_u32_e64 s1, 4, v0
	s_delay_alu instid0(VALU_DEP_1)
	s_and_b32 exec_lo, exec_lo, s1
	s_cbranch_execz .LBB0_18
; %bb.17:
	s_lshl_b64 s[4:5], s[14:15], 6
	s_delay_alu instid0(SALU_CYCLE_1) | instskip(SKIP_3) | instid1(VALU_DEP_4)
	v_dual_mov_b32 v2, s5 :: v_dual_lshlrev_b32 v1, 2, v7
	v_lshlrev_b32_e32 v5, 3, v0
	v_lshlrev_b32_e32 v16, 5, v7
	v_mul_u32_u24_e32 v17, 24, v6
	v_lshl_or_b32 v1, v6, 4, v1
	s_delay_alu instid0(VALU_DEP_3) | instskip(NEXT) | instid1(VALU_DEP_2)
	v_add_nc_u32_e32 v14, v16, v5
	v_or3_b32 v1, s4, v1, v0
	s_delay_alu instid0(VALU_DEP_1) | instskip(NEXT) | instid1(VALU_DEP_1)
	v_lshlrev_b64 v[1:2], 3, v[1:2]
	v_add_co_u32 v1, s1, s6, v1
	s_delay_alu instid0(VALU_DEP_1)
	v_add_co_ci_u32_e64 v2, s1, s7, v2, s1
	global_load_b64 v[12:13], v[1:2], off
	ds_load_2addr_b64 v[1:4], v14 offset1:16
	ds_load_2addr_b64 v[8:11], v17 offset0:156 offset1:157
	ds_load_b64 v[14:15], v14 offset:256
	s_waitcnt lgkmcnt(1)
	v_fma_f64 v[1:2], v[1:2], v[8:9], 0
	s_delay_alu instid0(VALU_DEP_1) | instskip(SKIP_4) | instid1(VALU_DEP_1)
	v_fma_f64 v[1:2], v[3:4], v[10:11], v[1:2]
	ds_load_b64 v[3:4], v17 offset:1264
	s_waitcnt lgkmcnt(0)
	v_fma_f64 v[1:2], v[14:15], v[3:4], v[1:2]
	v_lshlrev_b32_e32 v3, 7, v6
	v_add3_u32 v3, v3, v16, v5
	s_waitcnt vmcnt(0)
	s_delay_alu instid0(VALU_DEP_3)
	v_mul_f64 v[1:2], v[1:2], v[12:13]
	ds_store_b64 v3, v[1:2] offset:512
.LBB0_18:
	s_or_b32 exec_lo, exec_lo, s2
	s_waitcnt lgkmcnt(0)
	s_barrier
	buffer_gl0_inv
	s_and_saveexec_b32 s2, s0
	s_cbranch_execz .LBB0_22
; %bb.19:
	v_cmp_gt_u32_e64 s1, 4, v7
	s_delay_alu instid0(VALU_DEP_1)
	s_and_b32 exec_lo, exec_lo, s1
	s_cbranch_execz .LBB0_22
; %bb.20:
	v_cmp_gt_u32_e64 s1, 3, v0
	s_delay_alu instid0(VALU_DEP_1)
	s_and_b32 exec_lo, exec_lo, s1
	s_cbranch_execz .LBB0_22
; %bb.21:
	v_lshlrev_b32_e32 v1, 5, v7
	v_lshlrev_b32_e32 v5, 5, v0
	s_delay_alu instid0(VALU_DEP_2)
	v_lshl_add_u32 v12, v6, 7, v1
	ds_load_b128 v[1:4], v5 offset:1344
	ds_load_b128 v[8:11], v12 offset:512
	;; [unrolled: 1-line block ×4, first 2 shown]
	v_mul_u32_u24_e32 v5, 0x60, v6
	s_waitcnt lgkmcnt(2)
	v_fma_f64 v[1:2], v[8:9], v[1:2], 0
	s_delay_alu instid0(VALU_DEP_1) | instskip(SKIP_2) | instid1(VALU_DEP_1)
	v_fma_f64 v[1:2], v[10:11], v[3:4], v[1:2]
	v_lshlrev_b32_e32 v3, 3, v0
	v_mul_u32_u24_e32 v4, 24, v7
	v_add3_u32 v3, v5, v4, v3
	s_waitcnt lgkmcnt(0)
	s_delay_alu instid0(VALU_DEP_4) | instskip(NEXT) | instid1(VALU_DEP_1)
	v_fma_f64 v[1:2], v[12:13], v[16:17], v[1:2]
	v_fma_f64 v[1:2], v[14:15], v[18:19], v[1:2]
	ds_store_b64 v3, v[1:2]
.LBB0_22:
	s_or_b32 exec_lo, exec_lo, s2
	s_waitcnt lgkmcnt(0)
	s_barrier
	buffer_gl0_inv
	s_and_saveexec_b32 s1, s0
	s_cbranch_execz .LBB0_26
; %bb.23:
	v_cmp_gt_u32_e64 s0, 3, v7
	s_delay_alu instid0(VALU_DEP_1)
	s_and_b32 exec_lo, exec_lo, s0
	s_cbranch_execz .LBB0_26
; %bb.24:
	v_cmp_gt_u32_e64 s0, 3, v0
	s_delay_alu instid0(VALU_DEP_1)
	s_and_b32 exec_lo, exec_lo, s0
	s_cbranch_execz .LBB0_26
; %bb.25:
	v_lshlrev_b32_e32 v5, 3, v0
	v_lshlrev_b32_e32 v12, 5, v7
	s_delay_alu instid0(VALU_DEP_2)
	v_mad_u32_u24 v16, 0x60, v6, v5
	ds_load_2addr_b64 v[1:4], v16 offset1:3
	ds_load_b128 v[8:11], v12 offset:1344
	ds_load_b128 v[12:15], v12 offset:1360
	s_waitcnt lgkmcnt(1)
	v_fma_f64 v[1:2], v[1:2], v[8:9], 0
	s_delay_alu instid0(VALU_DEP_1) | instskip(SKIP_3) | instid1(VALU_DEP_1)
	v_fma_f64 v[8:9], v[3:4], v[10:11], v[1:2]
	ds_load_2addr_b64 v[1:4], v16 offset0:6 offset1:9
	s_waitcnt lgkmcnt(0)
	v_fma_f64 v[1:2], v[1:2], v[12:13], v[8:9]
	v_fma_f64 v[1:2], v[3:4], v[14:15], v[1:2]
	v_mul_u32_u24_e32 v3, 24, v7
	v_mul_u32_u24_e32 v4, 0x48, v6
	s_delay_alu instid0(VALU_DEP_1)
	v_add3_u32 v3, v4, v3, v5
	ds_store_b64 v3, v[1:2] offset:512
.LBB0_26:
	s_or_b32 exec_lo, exec_lo, s1
	s_waitcnt lgkmcnt(0)
	s_barrier
	buffer_gl0_inv
	s_and_saveexec_b32 s0, vcc_lo
	s_cbranch_execz .LBB0_31
; %bb.27:
	v_cmp_gt_u32_e32 vcc_lo, 3, v7
	s_and_b32 exec_lo, exec_lo, vcc_lo
	s_cbranch_execz .LBB0_31
; %bb.28:
	v_cmp_gt_u32_e32 vcc_lo, 3, v0
	s_and_b32 exec_lo, exec_lo, vcc_lo
	s_cbranch_execz .LBB0_31
; %bb.29:
	v_mad_u32_u24 v1, v6, 3, v7
	s_mov_b32 s0, 0
	s_delay_alu instid0(VALU_DEP_1) | instskip(NEXT) | instid1(VALU_DEP_1)
	v_mul_u32_u24_e32 v1, 3, v1
	v_add_lshl_u32 v1, v1, v0, 3
	v_lshlrev_b32_e32 v0, 3, v0
	ds_load_b64 v[1:2], v1 offset:1024
	v_mad_u32_u24 v18, v7, 24, v0
	v_lshlrev_b32_e32 v0, 5, v6
	s_waitcnt lgkmcnt(0)
	v_lshlrev_b64 v[1:2], 3, v[1:2]
	s_delay_alu instid0(VALU_DEP_1) | instskip(NEXT) | instid1(VALU_DEP_2)
	v_add_co_u32 v4, vcc_lo, s12, v1
	v_add_co_ci_u32_e32 v5, vcc_lo, s13, v2, vcc_lo
	global_load_b64 v[2:3], v[4:5], off
	ds_load_2addr_b64 v[6:9], v18 offset0:64 offset1:73
	ds_load_b128 v[10:13], v0 offset:1344
	ds_load_b128 v[14:17], v0 offset:1360
	s_waitcnt lgkmcnt(1)
	v_fma_f64 v[0:1], v[6:7], v[10:11], 0
	s_delay_alu instid0(VALU_DEP_1) | instskip(SKIP_3) | instid1(VALU_DEP_1)
	v_fma_f64 v[0:1], v[8:9], v[12:13], v[0:1]
	ds_load_2addr_b64 v[6:9], v18 offset0:82 offset1:91
	s_waitcnt lgkmcnt(0)
	v_fma_f64 v[0:1], v[6:7], v[14:15], v[0:1]
	v_fma_f64 v[6:7], v[8:9], v[16:17], v[0:1]
.LBB0_30:                               ; =>This Inner Loop Header: Depth=1
	s_waitcnt vmcnt(0)
	s_delay_alu instid0(VALU_DEP_1)
	v_add_f64 v[0:1], v[2:3], v[6:7]
	global_atomic_cmpswap_b64 v[0:1], v[4:5], v[0:3], off glc
	s_waitcnt vmcnt(0)
	v_cmp_eq_u64_e32 vcc_lo, v[0:1], v[2:3]
	v_dual_mov_b32 v3, v1 :: v_dual_mov_b32 v2, v0
	s_or_b32 s0, vcc_lo, s0
	s_delay_alu instid0(SALU_CYCLE_1)
	s_and_not1_b32 exec_lo, exec_lo, s0
	s_cbranch_execnz .LBB0_30
.LBB0_31:
	s_endpgm
	.section	.rodata,"a",@progbits
	.p2align	6, 0x0
	.amdhsa_kernel _ZN8rajaperf4apps15Mass3DPA_AtomicILm64EEEvPdS2_S2_PlS2_
		.amdhsa_group_segment_fixed_size 1440
		.amdhsa_private_segment_fixed_size 0
		.amdhsa_kernarg_size 40
		.amdhsa_user_sgpr_count 15
		.amdhsa_user_sgpr_dispatch_ptr 0
		.amdhsa_user_sgpr_queue_ptr 0
		.amdhsa_user_sgpr_kernarg_segment_ptr 1
		.amdhsa_user_sgpr_dispatch_id 0
		.amdhsa_user_sgpr_private_segment_size 0
		.amdhsa_wavefront_size32 1
		.amdhsa_uses_dynamic_stack 0
		.amdhsa_enable_private_segment 0
		.amdhsa_system_sgpr_workgroup_id_x 1
		.amdhsa_system_sgpr_workgroup_id_y 0
		.amdhsa_system_sgpr_workgroup_id_z 0
		.amdhsa_system_sgpr_workgroup_info 0
		.amdhsa_system_vgpr_workitem_id 2
		.amdhsa_next_free_vgpr 20
		.amdhsa_next_free_sgpr 16
		.amdhsa_reserve_vcc 1
		.amdhsa_float_round_mode_32 0
		.amdhsa_float_round_mode_16_64 0
		.amdhsa_float_denorm_mode_32 3
		.amdhsa_float_denorm_mode_16_64 3
		.amdhsa_dx10_clamp 1
		.amdhsa_ieee_mode 1
		.amdhsa_fp16_overflow 0
		.amdhsa_workgroup_processor_mode 1
		.amdhsa_memory_ordered 1
		.amdhsa_forward_progress 0
		.amdhsa_shared_vgpr_count 0
		.amdhsa_exception_fp_ieee_invalid_op 0
		.amdhsa_exception_fp_denorm_src 0
		.amdhsa_exception_fp_ieee_div_zero 0
		.amdhsa_exception_fp_ieee_overflow 0
		.amdhsa_exception_fp_ieee_underflow 0
		.amdhsa_exception_fp_ieee_inexact 0
		.amdhsa_exception_int_div_zero 0
	.end_amdhsa_kernel
	.section	.text._ZN8rajaperf4apps15Mass3DPA_AtomicILm64EEEvPdS2_S2_PlS2_,"axG",@progbits,_ZN8rajaperf4apps15Mass3DPA_AtomicILm64EEEvPdS2_S2_PlS2_,comdat
.Lfunc_end0:
	.size	_ZN8rajaperf4apps15Mass3DPA_AtomicILm64EEEvPdS2_S2_PlS2_, .Lfunc_end0-_ZN8rajaperf4apps15Mass3DPA_AtomicILm64EEEvPdS2_S2_PlS2_
                                        ; -- End function
	.section	.AMDGPU.csdata,"",@progbits
; Kernel info:
; codeLenInByte = 1740
; NumSgprs: 18
; NumVgprs: 20
; ScratchSize: 0
; MemoryBound: 0
; FloatMode: 240
; IeeeMode: 1
; LDSByteSize: 1440 bytes/workgroup (compile time only)
; SGPRBlocks: 2
; VGPRBlocks: 2
; NumSGPRsForWavesPerEU: 18
; NumVGPRsForWavesPerEU: 20
; Occupancy: 16
; WaveLimiterHint : 1
; COMPUTE_PGM_RSRC2:SCRATCH_EN: 0
; COMPUTE_PGM_RSRC2:USER_SGPR: 15
; COMPUTE_PGM_RSRC2:TRAP_HANDLER: 0
; COMPUTE_PGM_RSRC2:TGID_X_EN: 1
; COMPUTE_PGM_RSRC2:TGID_Y_EN: 0
; COMPUTE_PGM_RSRC2:TGID_Z_EN: 0
; COMPUTE_PGM_RSRC2:TIDIG_COMP_CNT: 2
	.section	.text._ZN4RAJA34launch_new_reduce_global_fcn_fixedIZN8rajaperf4apps15MASS3DPA_ATOMIC17runHipVariantImplILm64EEEvNS1_9VariantIDEEUlNS_14LaunchContextTINS_3hip33LaunchContextIndicesAndDimsPolicyINS7_14IndicesAndDimsILb0ELb0ELb0ELb0EEEEEEEE_Li64ENS_4expt15ForallParamPackIJEEEEEvT_T1_,"axG",@progbits,_ZN4RAJA34launch_new_reduce_global_fcn_fixedIZN8rajaperf4apps15MASS3DPA_ATOMIC17runHipVariantImplILm64EEEvNS1_9VariantIDEEUlNS_14LaunchContextTINS_3hip33LaunchContextIndicesAndDimsPolicyINS7_14IndicesAndDimsILb0ELb0ELb0ELb0EEEEEEEE_Li64ENS_4expt15ForallParamPackIJEEEEEvT_T1_,comdat
	.protected	_ZN4RAJA34launch_new_reduce_global_fcn_fixedIZN8rajaperf4apps15MASS3DPA_ATOMIC17runHipVariantImplILm64EEEvNS1_9VariantIDEEUlNS_14LaunchContextTINS_3hip33LaunchContextIndicesAndDimsPolicyINS7_14IndicesAndDimsILb0ELb0ELb0ELb0EEEEEEEE_Li64ENS_4expt15ForallParamPackIJEEEEEvT_T1_ ; -- Begin function _ZN4RAJA34launch_new_reduce_global_fcn_fixedIZN8rajaperf4apps15MASS3DPA_ATOMIC17runHipVariantImplILm64EEEvNS1_9VariantIDEEUlNS_14LaunchContextTINS_3hip33LaunchContextIndicesAndDimsPolicyINS7_14IndicesAndDimsILb0ELb0ELb0ELb0EEEEEEEE_Li64ENS_4expt15ForallParamPackIJEEEEEvT_T1_
	.globl	_ZN4RAJA34launch_new_reduce_global_fcn_fixedIZN8rajaperf4apps15MASS3DPA_ATOMIC17runHipVariantImplILm64EEEvNS1_9VariantIDEEUlNS_14LaunchContextTINS_3hip33LaunchContextIndicesAndDimsPolicyINS7_14IndicesAndDimsILb0ELb0ELb0ELb0EEEEEEEE_Li64ENS_4expt15ForallParamPackIJEEEEEvT_T1_
	.p2align	8
	.type	_ZN4RAJA34launch_new_reduce_global_fcn_fixedIZN8rajaperf4apps15MASS3DPA_ATOMIC17runHipVariantImplILm64EEEvNS1_9VariantIDEEUlNS_14LaunchContextTINS_3hip33LaunchContextIndicesAndDimsPolicyINS7_14IndicesAndDimsILb0ELb0ELb0ELb0EEEEEEEE_Li64ENS_4expt15ForallParamPackIJEEEEEvT_T1_,@function
_ZN4RAJA34launch_new_reduce_global_fcn_fixedIZN8rajaperf4apps15MASS3DPA_ATOMIC17runHipVariantImplILm64EEEvNS1_9VariantIDEEUlNS_14LaunchContextTINS_3hip33LaunchContextIndicesAndDimsPolicyINS7_14IndicesAndDimsILb0ELb0ELb0ELb0EEEEEEEE_Li64ENS_4expt15ForallParamPackIJEEEEEvT_T1_: ; @_ZN4RAJA34launch_new_reduce_global_fcn_fixedIZN8rajaperf4apps15MASS3DPA_ATOMIC17runHipVariantImplILm64EEEvNS1_9VariantIDEEUlNS_14LaunchContextTINS_3hip33LaunchContextIndicesAndDimsPolicyINS7_14IndicesAndDimsILb0ELb0ELb0ELb0EEEEEEEE_Li64ENS_4expt15ForallParamPackIJEEEEEvT_T1_
; %bb.0:
	s_load_b256 s[4:11], s[0:1], 0x0
	s_mov_b32 s16, s15
	s_mov_b32 s17, 0
	s_waitcnt lgkmcnt(0)
	v_cmp_le_i64_e64 s2, s[4:5], s[16:17]
	s_delay_alu instid0(VALU_DEP_1)
	s_and_b32 vcc_lo, exec_lo, s2
	s_cbranch_vccnz .LBB1_32
; %bb.1:
	s_load_b128 s[12:15], s[0:1], 0x20
	v_bfe_u32 v6, v0, 20, 10
	v_bfe_u32 v7, v0, 10, 10
	s_delay_alu instid0(VALU_DEP_2)
	v_cmp_gt_u32_e32 vcc_lo, 3, v6
	s_and_saveexec_b32 s1, vcc_lo
	s_cbranch_execz .LBB1_5
; %bb.2:
	s_delay_alu instid0(VALU_DEP_2) | instskip(NEXT) | instid1(VALU_DEP_1)
	v_cmp_gt_u32_e64 s0, 3, v7
	s_and_b32 exec_lo, exec_lo, s0
	s_cbranch_execz .LBB1_5
; %bb.3:
	v_and_b32_e32 v1, 0x3ff, v0
	s_delay_alu instid0(VALU_DEP_1) | instskip(NEXT) | instid1(VALU_DEP_1)
	v_cmp_gt_u32_e64 s0, 3, v1
	s_and_b32 exec_lo, exec_lo, s0
	s_cbranch_execz .LBB1_5
; %bb.4:
	v_mul_u32_u24_e32 v3, 3, v6
	v_mov_b32_e32 v2, 0
	v_mul_u32_u24_e32 v10, 0x48, v6
	s_delay_alu instid0(VALU_DEP_3) | instskip(NEXT) | instid1(VALU_DEP_1)
	v_add_nc_u32_e32 v5, v3, v7
	v_mad_u64_u32 v[3:4], null, v5, 3, v[1:2]
	v_lshlrev_b32_e32 v1, 3, v1
	v_mul_u32_u24_e32 v2, 24, v7
	s_delay_alu instid0(VALU_DEP_1) | instskip(NEXT) | instid1(VALU_DEP_4)
	v_add3_u32 v1, v10, v2, v1
	v_lshlrev_b64 v[4:5], 3, v[3:4]
	v_lshlrev_b32_e32 v3, 3, v3
	s_delay_alu instid0(VALU_DEP_2) | instskip(NEXT) | instid1(VALU_DEP_1)
	v_add_co_u32 v4, s0, s6, v4
	v_add_co_ci_u32_e64 v5, s0, s7, v5, s0
	s_delay_alu instid0(VALU_DEP_1) | instskip(SKIP_3) | instid1(VALU_DEP_1)
	v_mad_u64_u32 v[8:9], null, 0xd8, s16, v[4:5]
	global_load_b64 v[4:5], v[8:9], off
	s_waitcnt vmcnt(0)
	v_lshlrev_b64 v[8:9], 3, v[4:5]
	v_add_co_u32 v8, s0, s8, v8
	s_delay_alu instid0(VALU_DEP_1)
	v_add_co_ci_u32_e64 v9, s0, s9, v9, s0
	global_load_b64 v[8:9], v[8:9], off
	ds_store_b64 v3, v[4:5] offset:1024
	s_waitcnt vmcnt(0)
	ds_store_b64 v1, v[8:9]
.LBB1_5:
	s_or_b32 exec_lo, exec_lo, s1
	v_and_b32_e32 v0, 0x3ff, v0
	v_cmp_gt_u32_e64 s0, 3, v7
	v_cmp_eq_u32_e64 s2, 0, v6
	s_delay_alu instid0(VALU_DEP_3) | instskip(NEXT) | instid1(VALU_DEP_1)
	v_cmp_gt_u32_e64 s1, 4, v0
	s_and_b32 s0, s0, s1
	s_delay_alu instid0(VALU_DEP_2) | instid1(SALU_CYCLE_1)
	s_and_b32 s0, s0, s2
	s_delay_alu instid0(SALU_CYCLE_1)
	s_and_saveexec_b32 s1, s0
	s_cbranch_execz .LBB1_7
; %bb.6:
	v_lshlrev_b32_e32 v3, 5, v7
	v_lshlrev_b32_e32 v4, 3, v0
	;; [unrolled: 1-line block ×3, first 2 shown]
	s_delay_alu instid0(VALU_DEP_3) | instskip(NEXT) | instid1(VALU_DEP_1)
	v_add_co_u32 v1, s0, s10, v3
	v_add_co_ci_u32_e64 v2, null, s11, 0, s0
	s_delay_alu instid0(VALU_DEP_3) | instskip(NEXT) | instid1(VALU_DEP_3)
	v_mad_u32_u24 v5, v0, 24, v5
	v_add_co_u32 v1, s0, v1, v4
	s_delay_alu instid0(VALU_DEP_1)
	v_add_co_ci_u32_e64 v2, s0, 0, v2, s0
	v_add_nc_u32_e32 v3, v3, v4
	global_load_b64 v[1:2], v[1:2], off
	s_waitcnt vmcnt(0)
	ds_store_b64 v5, v[1:2] offset:1248
	ds_store_b64 v3, v[1:2] offset:1344
.LBB1_7:
	s_or_b32 exec_lo, exec_lo, s1
	s_waitcnt lgkmcnt(0)
	s_barrier
	buffer_gl0_inv
	s_and_saveexec_b32 s1, vcc_lo
	s_cbranch_execz .LBB1_11
; %bb.8:
	v_cmp_gt_u32_e64 s0, 3, v7
	s_delay_alu instid0(VALU_DEP_1)
	s_and_b32 exec_lo, exec_lo, s0
	s_cbranch_execz .LBB1_11
; %bb.9:
	v_cmp_gt_u32_e64 s0, 4, v0
	s_delay_alu instid0(VALU_DEP_1)
	s_and_b32 exec_lo, exec_lo, s0
	s_cbranch_execz .LBB1_11
; %bb.10:
	v_mul_u32_u24_e32 v1, 24, v7
	v_mul_u32_u24_e32 v5, 24, v0
	s_delay_alu instid0(VALU_DEP_2)
	v_mad_u32_u24 v12, 0x48, v6, v1
	ds_load_2addr_b64 v[1:4], v5 offset0:156 offset1:157
	ds_load_2addr_b64 v[8:11], v12 offset1:1
	ds_load_b64 v[12:13], v12 offset:16
	ds_load_b64 v[14:15], v5 offset:1264
	v_mul_u32_u24_e32 v5, 0x60, v6
	s_waitcnt lgkmcnt(2)
	v_fma_f64 v[1:2], v[8:9], v[1:2], 0
	s_delay_alu instid0(VALU_DEP_1) | instskip(SKIP_2) | instid1(VALU_DEP_1)
	v_fma_f64 v[1:2], v[10:11], v[3:4], v[1:2]
	v_lshlrev_b32_e32 v3, 3, v0
	v_lshlrev_b32_e32 v4, 5, v7
	v_add3_u32 v3, v5, v4, v3
	s_waitcnt lgkmcnt(0)
	s_delay_alu instid0(VALU_DEP_4)
	v_fma_f64 v[1:2], v[12:13], v[14:15], v[1:2]
	ds_store_b64 v3, v[1:2] offset:512
.LBB1_11:
	s_or_b32 exec_lo, exec_lo, s1
	s_waitcnt lgkmcnt(0)
	s_barrier
	buffer_gl0_inv
	s_and_saveexec_b32 s1, vcc_lo
	s_cbranch_execz .LBB1_15
; %bb.12:
	v_cmp_gt_u32_e64 s0, 4, v7
	s_delay_alu instid0(VALU_DEP_1)
	s_and_b32 exec_lo, exec_lo, s0
	s_cbranch_execz .LBB1_15
; %bb.13:
	v_cmp_gt_u32_e64 s0, 4, v0
	s_delay_alu instid0(VALU_DEP_1)
	s_and_b32 exec_lo, exec_lo, s0
	s_cbranch_execz .LBB1_15
; %bb.14:
	v_lshlrev_b32_e32 v5, 3, v0
	v_mul_u32_u24_e32 v14, 24, v7
	s_delay_alu instid0(VALU_DEP_2)
	v_mad_u32_u24 v12, 0x60, v6, v5
	ds_load_2addr_b64 v[1:4], v12 offset0:64 offset1:68
	ds_load_2addr_b64 v[8:11], v14 offset0:156 offset1:157
	ds_load_b64 v[12:13], v12 offset:576
	s_waitcnt lgkmcnt(1)
	v_fma_f64 v[1:2], v[1:2], v[8:9], 0
	s_delay_alu instid0(VALU_DEP_1)
	v_fma_f64 v[1:2], v[3:4], v[10:11], v[1:2]
	ds_load_b64 v[3:4], v14 offset:1264
	s_waitcnt lgkmcnt(0)
	v_fma_f64 v[1:2], v[12:13], v[3:4], v[1:2]
	v_lshlrev_b32_e32 v3, 5, v7
	v_lshlrev_b32_e32 v4, 7, v6
	s_delay_alu instid0(VALU_DEP_1)
	v_add3_u32 v3, v4, v3, v5
	ds_store_b64 v3, v[1:2]
.LBB1_15:
	s_or_b32 exec_lo, exec_lo, s1
	v_cmp_gt_u32_e64 s0, 4, v6
	s_waitcnt lgkmcnt(0)
	s_barrier
	buffer_gl0_inv
	s_and_saveexec_b32 s2, s0
	s_cbranch_execz .LBB1_19
; %bb.16:
	v_cmp_gt_u32_e64 s1, 4, v7
	s_delay_alu instid0(VALU_DEP_1)
	s_and_b32 exec_lo, exec_lo, s1
	s_cbranch_execz .LBB1_19
; %bb.17:
	v_cmp_gt_u32_e64 s1, 4, v0
	s_delay_alu instid0(VALU_DEP_1)
	s_and_b32 exec_lo, exec_lo, s1
	s_cbranch_execz .LBB1_19
; %bb.18:
	v_lshlrev_b32_e32 v5, 5, v7
	v_lshlrev_b32_e32 v16, 3, v0
	;; [unrolled: 1-line block ×3, first 2 shown]
	s_lshl_b64 s[4:5], s[16:17], 9
	v_mul_u32_u24_e32 v18, 24, v6
	v_add_co_u32 v1, s1, s12, v5
	s_delay_alu instid0(VALU_DEP_1) | instskip(SKIP_1) | instid1(VALU_DEP_3)
	v_add_co_ci_u32_e64 v2, null, s13, 0, s1
	v_add_nc_u32_e32 v14, v5, v16
	v_add_co_u32 v1, s1, v1, v16
	s_delay_alu instid0(VALU_DEP_1) | instskip(NEXT) | instid1(VALU_DEP_2)
	v_add_co_ci_u32_e64 v2, s1, 0, v2, s1
	v_add_co_u32 v1, s1, v1, v17
	s_delay_alu instid0(VALU_DEP_1) | instskip(NEXT) | instid1(VALU_DEP_2)
	v_add_co_ci_u32_e64 v2, s1, 0, v2, s1
	v_add_co_u32 v1, s1, v1, s4
	s_delay_alu instid0(VALU_DEP_1)
	v_add_co_ci_u32_e64 v2, s1, s5, v2, s1
	global_load_b64 v[12:13], v[1:2], off
	ds_load_2addr_b64 v[1:4], v14 offset1:16
	ds_load_2addr_b64 v[8:11], v18 offset0:156 offset1:157
	ds_load_b64 v[14:15], v14 offset:256
	s_waitcnt lgkmcnt(1)
	v_fma_f64 v[1:2], v[1:2], v[8:9], 0
	s_delay_alu instid0(VALU_DEP_1)
	v_fma_f64 v[1:2], v[3:4], v[10:11], v[1:2]
	ds_load_b64 v[3:4], v18 offset:1264
	s_waitcnt lgkmcnt(0)
	v_fma_f64 v[1:2], v[14:15], v[3:4], v[1:2]
	v_add3_u32 v3, v17, v5, v16
	s_waitcnt vmcnt(0)
	s_delay_alu instid0(VALU_DEP_2)
	v_mul_f64 v[1:2], v[12:13], v[1:2]
	ds_store_b64 v3, v[1:2] offset:512
.LBB1_19:
	s_or_b32 exec_lo, exec_lo, s2
	s_waitcnt lgkmcnt(0)
	s_barrier
	buffer_gl0_inv
	s_and_saveexec_b32 s2, s0
	s_cbranch_execz .LBB1_23
; %bb.20:
	v_cmp_gt_u32_e64 s1, 4, v7
	s_delay_alu instid0(VALU_DEP_1)
	s_and_b32 exec_lo, exec_lo, s1
	s_cbranch_execz .LBB1_23
; %bb.21:
	v_cmp_gt_u32_e64 s1, 3, v0
	s_delay_alu instid0(VALU_DEP_1)
	s_and_b32 exec_lo, exec_lo, s1
	s_cbranch_execz .LBB1_23
; %bb.22:
	v_lshlrev_b32_e32 v1, 5, v7
	v_lshlrev_b32_e32 v5, 5, v0
	s_delay_alu instid0(VALU_DEP_2)
	v_lshl_add_u32 v12, v6, 7, v1
	ds_load_b128 v[1:4], v5 offset:1344
	ds_load_b128 v[8:11], v12 offset:512
	;; [unrolled: 1-line block ×4, first 2 shown]
	v_mul_u32_u24_e32 v5, 0x60, v6
	s_waitcnt lgkmcnt(2)
	v_fma_f64 v[1:2], v[8:9], v[1:2], 0
	s_delay_alu instid0(VALU_DEP_1) | instskip(SKIP_2) | instid1(VALU_DEP_1)
	v_fma_f64 v[1:2], v[10:11], v[3:4], v[1:2]
	v_lshlrev_b32_e32 v3, 3, v0
	v_mul_u32_u24_e32 v4, 24, v7
	v_add3_u32 v3, v5, v4, v3
	s_waitcnt lgkmcnt(0)
	s_delay_alu instid0(VALU_DEP_4) | instskip(NEXT) | instid1(VALU_DEP_1)
	v_fma_f64 v[1:2], v[12:13], v[16:17], v[1:2]
	v_fma_f64 v[1:2], v[14:15], v[18:19], v[1:2]
	ds_store_b64 v3, v[1:2]
.LBB1_23:
	s_or_b32 exec_lo, exec_lo, s2
	s_waitcnt lgkmcnt(0)
	s_barrier
	buffer_gl0_inv
	s_and_saveexec_b32 s1, s0
	s_cbranch_execz .LBB1_27
; %bb.24:
	v_cmp_gt_u32_e64 s0, 3, v7
	s_delay_alu instid0(VALU_DEP_1)
	s_and_b32 exec_lo, exec_lo, s0
	s_cbranch_execz .LBB1_27
; %bb.25:
	v_cmp_gt_u32_e64 s0, 3, v0
	s_delay_alu instid0(VALU_DEP_1)
	s_and_b32 exec_lo, exec_lo, s0
	s_cbranch_execz .LBB1_27
; %bb.26:
	v_lshlrev_b32_e32 v5, 3, v0
	v_lshlrev_b32_e32 v12, 5, v7
	s_delay_alu instid0(VALU_DEP_2)
	v_mad_u32_u24 v16, 0x60, v6, v5
	ds_load_2addr_b64 v[1:4], v16 offset1:3
	ds_load_b128 v[8:11], v12 offset:1344
	ds_load_b128 v[12:15], v12 offset:1360
	s_waitcnt lgkmcnt(1)
	v_fma_f64 v[1:2], v[1:2], v[8:9], 0
	s_delay_alu instid0(VALU_DEP_1) | instskip(SKIP_3) | instid1(VALU_DEP_1)
	v_fma_f64 v[8:9], v[3:4], v[10:11], v[1:2]
	ds_load_2addr_b64 v[1:4], v16 offset0:6 offset1:9
	s_waitcnt lgkmcnt(0)
	v_fma_f64 v[1:2], v[1:2], v[12:13], v[8:9]
	v_fma_f64 v[1:2], v[3:4], v[14:15], v[1:2]
	v_mul_u32_u24_e32 v3, 24, v7
	v_mul_u32_u24_e32 v4, 0x48, v6
	s_delay_alu instid0(VALU_DEP_1)
	v_add3_u32 v3, v4, v3, v5
	ds_store_b64 v3, v[1:2] offset:512
.LBB1_27:
	s_or_b32 exec_lo, exec_lo, s1
	s_waitcnt lgkmcnt(0)
	s_barrier
	buffer_gl0_inv
	s_and_saveexec_b32 s0, vcc_lo
	s_cbranch_execz .LBB1_32
; %bb.28:
	v_cmp_gt_u32_e32 vcc_lo, 3, v7
	s_and_b32 exec_lo, exec_lo, vcc_lo
	s_cbranch_execz .LBB1_32
; %bb.29:
	v_cmp_gt_u32_e32 vcc_lo, 3, v0
	s_and_b32 exec_lo, exec_lo, vcc_lo
	s_cbranch_execz .LBB1_32
; %bb.30:
	v_mad_u32_u24 v1, v6, 3, v7
	s_mov_b32 s0, 0
	s_delay_alu instid0(VALU_DEP_1) | instskip(NEXT) | instid1(VALU_DEP_1)
	v_mul_u32_u24_e32 v1, 3, v1
	v_add_lshl_u32 v1, v1, v0, 3
	v_lshlrev_b32_e32 v0, 3, v0
	ds_load_b64 v[1:2], v1 offset:1024
	v_mad_u32_u24 v18, v7, 24, v0
	v_lshlrev_b32_e32 v0, 5, v6
	s_waitcnt lgkmcnt(0)
	v_lshlrev_b64 v[1:2], 3, v[1:2]
	s_delay_alu instid0(VALU_DEP_1) | instskip(NEXT) | instid1(VALU_DEP_2)
	v_add_co_u32 v4, vcc_lo, s14, v1
	v_add_co_ci_u32_e32 v5, vcc_lo, s15, v2, vcc_lo
	global_load_b64 v[2:3], v[4:5], off
	ds_load_2addr_b64 v[6:9], v18 offset0:64 offset1:73
	ds_load_b128 v[10:13], v0 offset:1344
	ds_load_b128 v[14:17], v0 offset:1360
	s_waitcnt lgkmcnt(1)
	v_fma_f64 v[0:1], v[6:7], v[10:11], 0
	s_delay_alu instid0(VALU_DEP_1) | instskip(SKIP_3) | instid1(VALU_DEP_1)
	v_fma_f64 v[0:1], v[8:9], v[12:13], v[0:1]
	ds_load_2addr_b64 v[6:9], v18 offset0:82 offset1:91
	s_waitcnt lgkmcnt(0)
	v_fma_f64 v[0:1], v[6:7], v[14:15], v[0:1]
	v_fma_f64 v[6:7], v[8:9], v[16:17], v[0:1]
.LBB1_31:                               ; =>This Inner Loop Header: Depth=1
	s_waitcnt vmcnt(0)
	s_delay_alu instid0(VALU_DEP_1)
	v_add_f64 v[0:1], v[2:3], v[6:7]
	global_atomic_cmpswap_b64 v[0:1], v[4:5], v[0:3], off glc
	s_waitcnt vmcnt(0)
	v_cmp_eq_u64_e32 vcc_lo, v[0:1], v[2:3]
	v_dual_mov_b32 v3, v1 :: v_dual_mov_b32 v2, v0
	s_or_b32 s0, vcc_lo, s0
	s_delay_alu instid0(SALU_CYCLE_1)
	s_and_not1_b32 exec_lo, exec_lo, s0
	s_cbranch_execnz .LBB1_31
.LBB1_32:
	s_endpgm
	.section	.rodata,"a",@progbits
	.p2align	6, 0x0
	.amdhsa_kernel _ZN4RAJA34launch_new_reduce_global_fcn_fixedIZN8rajaperf4apps15MASS3DPA_ATOMIC17runHipVariantImplILm64EEEvNS1_9VariantIDEEUlNS_14LaunchContextTINS_3hip33LaunchContextIndicesAndDimsPolicyINS7_14IndicesAndDimsILb0ELb0ELb0ELb0EEEEEEEE_Li64ENS_4expt15ForallParamPackIJEEEEEvT_T1_
		.amdhsa_group_segment_fixed_size 1440
		.amdhsa_private_segment_fixed_size 0
		.amdhsa_kernarg_size 52
		.amdhsa_user_sgpr_count 15
		.amdhsa_user_sgpr_dispatch_ptr 0
		.amdhsa_user_sgpr_queue_ptr 0
		.amdhsa_user_sgpr_kernarg_segment_ptr 1
		.amdhsa_user_sgpr_dispatch_id 0
		.amdhsa_user_sgpr_private_segment_size 0
		.amdhsa_wavefront_size32 1
		.amdhsa_uses_dynamic_stack 0
		.amdhsa_enable_private_segment 0
		.amdhsa_system_sgpr_workgroup_id_x 1
		.amdhsa_system_sgpr_workgroup_id_y 0
		.amdhsa_system_sgpr_workgroup_id_z 0
		.amdhsa_system_sgpr_workgroup_info 0
		.amdhsa_system_vgpr_workitem_id 2
		.amdhsa_next_free_vgpr 20
		.amdhsa_next_free_sgpr 18
		.amdhsa_reserve_vcc 1
		.amdhsa_float_round_mode_32 0
		.amdhsa_float_round_mode_16_64 0
		.amdhsa_float_denorm_mode_32 3
		.amdhsa_float_denorm_mode_16_64 3
		.amdhsa_dx10_clamp 1
		.amdhsa_ieee_mode 1
		.amdhsa_fp16_overflow 0
		.amdhsa_workgroup_processor_mode 1
		.amdhsa_memory_ordered 1
		.amdhsa_forward_progress 0
		.amdhsa_shared_vgpr_count 0
		.amdhsa_exception_fp_ieee_invalid_op 0
		.amdhsa_exception_fp_denorm_src 0
		.amdhsa_exception_fp_ieee_div_zero 0
		.amdhsa_exception_fp_ieee_overflow 0
		.amdhsa_exception_fp_ieee_underflow 0
		.amdhsa_exception_fp_ieee_inexact 0
		.amdhsa_exception_int_div_zero 0
	.end_amdhsa_kernel
	.section	.text._ZN4RAJA34launch_new_reduce_global_fcn_fixedIZN8rajaperf4apps15MASS3DPA_ATOMIC17runHipVariantImplILm64EEEvNS1_9VariantIDEEUlNS_14LaunchContextTINS_3hip33LaunchContextIndicesAndDimsPolicyINS7_14IndicesAndDimsILb0ELb0ELb0ELb0EEEEEEEE_Li64ENS_4expt15ForallParamPackIJEEEEEvT_T1_,"axG",@progbits,_ZN4RAJA34launch_new_reduce_global_fcn_fixedIZN8rajaperf4apps15MASS3DPA_ATOMIC17runHipVariantImplILm64EEEvNS1_9VariantIDEEUlNS_14LaunchContextTINS_3hip33LaunchContextIndicesAndDimsPolicyINS7_14IndicesAndDimsILb0ELb0ELb0ELb0EEEEEEEE_Li64ENS_4expt15ForallParamPackIJEEEEEvT_T1_,comdat
.Lfunc_end1:
	.size	_ZN4RAJA34launch_new_reduce_global_fcn_fixedIZN8rajaperf4apps15MASS3DPA_ATOMIC17runHipVariantImplILm64EEEvNS1_9VariantIDEEUlNS_14LaunchContextTINS_3hip33LaunchContextIndicesAndDimsPolicyINS7_14IndicesAndDimsILb0ELb0ELb0ELb0EEEEEEEE_Li64ENS_4expt15ForallParamPackIJEEEEEvT_T1_, .Lfunc_end1-_ZN4RAJA34launch_new_reduce_global_fcn_fixedIZN8rajaperf4apps15MASS3DPA_ATOMIC17runHipVariantImplILm64EEEvNS1_9VariantIDEEUlNS_14LaunchContextTINS_3hip33LaunchContextIndicesAndDimsPolicyINS7_14IndicesAndDimsILb0ELb0ELb0ELb0EEEEEEEE_Li64ENS_4expt15ForallParamPackIJEEEEEvT_T1_
                                        ; -- End function
	.section	.AMDGPU.csdata,"",@progbits
; Kernel info:
; codeLenInByte = 1804
; NumSgprs: 20
; NumVgprs: 20
; ScratchSize: 0
; MemoryBound: 0
; FloatMode: 240
; IeeeMode: 1
; LDSByteSize: 1440 bytes/workgroup (compile time only)
; SGPRBlocks: 2
; VGPRBlocks: 2
; NumSGPRsForWavesPerEU: 20
; NumVGPRsForWavesPerEU: 20
; Occupancy: 16
; WaveLimiterHint : 1
; COMPUTE_PGM_RSRC2:SCRATCH_EN: 0
; COMPUTE_PGM_RSRC2:USER_SGPR: 15
; COMPUTE_PGM_RSRC2:TRAP_HANDLER: 0
; COMPUTE_PGM_RSRC2:TGID_X_EN: 1
; COMPUTE_PGM_RSRC2:TGID_Y_EN: 0
; COMPUTE_PGM_RSRC2:TGID_Z_EN: 0
; COMPUTE_PGM_RSRC2:TIDIG_COMP_CNT: 2
	.text
	.p2alignl 7, 3214868480
	.fill 96, 4, 3214868480
	.type	__hip_cuid_d7e8278c714d2640,@object ; @__hip_cuid_d7e8278c714d2640
	.section	.bss,"aw",@nobits
	.globl	__hip_cuid_d7e8278c714d2640
__hip_cuid_d7e8278c714d2640:
	.byte	0                               ; 0x0
	.size	__hip_cuid_d7e8278c714d2640, 1

	.ident	"AMD clang version 19.0.0git (https://github.com/RadeonOpenCompute/llvm-project roc-6.4.0 25133 c7fe45cf4b819c5991fe208aaa96edf142730f1d)"
	.section	".note.GNU-stack","",@progbits
	.addrsig
	.addrsig_sym __hip_cuid_d7e8278c714d2640
	.amdgpu_metadata
---
amdhsa.kernels:
  - .args:
      - .address_space:  global
        .offset:         0
        .size:           8
        .value_kind:     global_buffer
      - .address_space:  global
        .offset:         8
        .size:           8
        .value_kind:     global_buffer
      - .address_space:  global
        .offset:         16
        .size:           8
        .value_kind:     global_buffer
      - .address_space:  global
        .offset:         24
        .size:           8
        .value_kind:     global_buffer
      - .address_space:  global
        .offset:         32
        .size:           8
        .value_kind:     global_buffer
    .group_segment_fixed_size: 1440
    .kernarg_segment_align: 8
    .kernarg_segment_size: 40
    .language:       OpenCL C
    .language_version:
      - 2
      - 0
    .max_flat_workgroup_size: 64
    .name:           _ZN8rajaperf4apps15Mass3DPA_AtomicILm64EEEvPdS2_S2_PlS2_
    .private_segment_fixed_size: 0
    .sgpr_count:     18
    .sgpr_spill_count: 0
    .symbol:         _ZN8rajaperf4apps15Mass3DPA_AtomicILm64EEEvPdS2_S2_PlS2_.kd
    .uniform_work_group_size: 1
    .uses_dynamic_stack: false
    .vgpr_count:     20
    .vgpr_spill_count: 0
    .wavefront_size: 32
    .workgroup_processor_mode: 1
  - .args:
      - .offset:         0
        .size:           48
        .value_kind:     by_value
      - .offset:         48
        .size:           1
        .value_kind:     by_value
    .group_segment_fixed_size: 1440
    .kernarg_segment_align: 8
    .kernarg_segment_size: 52
    .language:       OpenCL C
    .language_version:
      - 2
      - 0
    .max_flat_workgroup_size: 64
    .name:           _ZN4RAJA34launch_new_reduce_global_fcn_fixedIZN8rajaperf4apps15MASS3DPA_ATOMIC17runHipVariantImplILm64EEEvNS1_9VariantIDEEUlNS_14LaunchContextTINS_3hip33LaunchContextIndicesAndDimsPolicyINS7_14IndicesAndDimsILb0ELb0ELb0ELb0EEEEEEEE_Li64ENS_4expt15ForallParamPackIJEEEEEvT_T1_
    .private_segment_fixed_size: 0
    .sgpr_count:     20
    .sgpr_spill_count: 0
    .symbol:         _ZN4RAJA34launch_new_reduce_global_fcn_fixedIZN8rajaperf4apps15MASS3DPA_ATOMIC17runHipVariantImplILm64EEEvNS1_9VariantIDEEUlNS_14LaunchContextTINS_3hip33LaunchContextIndicesAndDimsPolicyINS7_14IndicesAndDimsILb0ELb0ELb0ELb0EEEEEEEE_Li64ENS_4expt15ForallParamPackIJEEEEEvT_T1_.kd
    .uniform_work_group_size: 1
    .uses_dynamic_stack: false
    .vgpr_count:     20
    .vgpr_spill_count: 0
    .wavefront_size: 32
    .workgroup_processor_mode: 1
amdhsa.target:   amdgcn-amd-amdhsa--gfx1100
amdhsa.version:
  - 1
  - 2
...

	.end_amdgpu_metadata
